;; amdgpu-corpus repo=zjin-lcf/HeCBench kind=compiled arch=gfx906 opt=O3
	.amdgcn_target "amdgcn-amd-amdhsa--gfx906"
	.amdhsa_code_object_version 6
	.section	.text._Z6kernelIfLi1ELi16ELi96ELi3ELi4ELi16EEvT_S0_iiPKS0_S2_PS0_S3_,"axG",@progbits,_Z6kernelIfLi1ELi16ELi96ELi3ELi4ELi16EEvT_S0_iiPKS0_S2_PS0_S3_,comdat
	.protected	_Z6kernelIfLi1ELi16ELi96ELi3ELi4ELi16EEvT_S0_iiPKS0_S2_PS0_S3_ ; -- Begin function _Z6kernelIfLi1ELi16ELi96ELi3ELi4ELi16EEvT_S0_iiPKS0_S2_PS0_S3_
	.globl	_Z6kernelIfLi1ELi16ELi96ELi3ELi4ELi16EEvT_S0_iiPKS0_S2_PS0_S3_
	.p2align	8
	.type	_Z6kernelIfLi1ELi16ELi96ELi3ELi4ELi16EEvT_S0_iiPKS0_S2_PS0_S3_,@function
_Z6kernelIfLi1ELi16ELi96ELi3ELi4ELi16EEvT_S0_iiPKS0_S2_PS0_S3_: ; @_Z6kernelIfLi1ELi16ELi96ELi3ELi4ELi16EEvT_S0_iiPKS0_S2_PS0_S3_
; %bb.0:
	v_mad_u64_u32 v[2:3], s[0:1], s6, 10, v[0:1]
	s_load_dwordx4 s[24:27], s[4:5], 0x0
	s_load_dwordx4 s[20:23], s[4:5], 0x20
	s_mul_i32 s14, s7, 0x58
	v_add_u32_e32 v7, -3, v2
	v_cmp_lt_i32_e64 s[6:7], -1, v7
	s_waitcnt lgkmcnt(0)
	v_cmp_gt_i32_e64 s[12:13], s26, v7
	v_add_u32_e32 v9, s14, v1
	s_and_b64 s[0:1], s[6:7], s[12:13]
	v_lshlrev_b32_e32 v8, 2, v0
	s_and_saveexec_b64 s[2:3], s[0:1]
	s_cbranch_execz .LBB0_13
; %bb.1:
	s_load_dwordx4 s[8:11], s[4:5], 0x10
	v_add_u32_e32 v6, -4, v9
	v_mad_u64_u32 v[3:4], s[0:1], s26, v6, v[7:8]
	v_cmp_lt_i32_e32 vcc, -1, v6
	v_cmp_gt_i32_e64 s[0:1], s27, v6
	v_add_u32_e32 v5, 0x1800, v8
	s_and_b64 s[4:5], vcc, s[0:1]
	s_and_saveexec_b64 s[0:1], s[4:5]
	s_cbranch_execz .LBB0_3
; %bb.2:
	v_ashrrev_i32_e32 v4, 31, v3
	v_lshlrev_b64 v[10:11], 2, v[3:4]
	s_waitcnt lgkmcnt(0)
	v_mov_b32_e32 v4, s9
	v_add_co_u32_e32 v12, vcc, s8, v10
	v_addc_co_u32_e32 v13, vcc, v4, v11, vcc
	v_mov_b32_e32 v6, s11
	v_add_co_u32_e32 v10, vcc, s10, v10
	global_load_dword v4, v[12:13], off
	v_addc_co_u32_e32 v11, vcc, v6, v11, vcc
	global_load_dword v6, v[10:11], off
	v_lshlrev_b32_e32 v10, 6, v1
	v_add_u32_e32 v11, v5, v10
	v_add_u32_e32 v10, v8, v10
	s_waitcnt vmcnt(1)
	ds_write_b32 v11, v4
	s_waitcnt vmcnt(0)
	ds_write_b32 v10, v6
.LBB0_3:
	s_or_b64 exec, exec, s[0:1]
	v_add_u32_e32 v4, 12, v9
	s_lshl_b32 s4, s26, 4
	v_cmp_lt_i32_e32 vcc, -1, v4
	v_cmp_gt_i32_e64 s[0:1], s27, v4
	v_add_u32_e32 v3, s4, v3
	s_and_b64 s[16:17], vcc, s[0:1]
	s_and_saveexec_b64 s[0:1], s[16:17]
	s_cbranch_execz .LBB0_5
; %bb.4:
	v_ashrrev_i32_e32 v4, 31, v3
	v_lshlrev_b64 v[10:11], 2, v[3:4]
	s_waitcnt lgkmcnt(0)
	v_mov_b32_e32 v4, s9
	v_add_co_u32_e32 v12, vcc, s8, v10
	v_addc_co_u32_e32 v13, vcc, v4, v11, vcc
	v_mov_b32_e32 v6, s11
	v_add_co_u32_e32 v10, vcc, s10, v10
	global_load_dword v4, v[12:13], off
	v_addc_co_u32_e32 v11, vcc, v6, v11, vcc
	global_load_dword v6, v[10:11], off
	v_lshlrev_b32_e32 v10, 6, v1
	v_add_u32_e32 v11, v5, v10
	v_add_u32_e32 v10, v8, v10
	s_waitcnt vmcnt(1)
	ds_write_b32 v11, v4 offset:1024
	s_waitcnt vmcnt(0)
	ds_write_b32 v10, v6 offset:1024
.LBB0_5:
	s_or_b64 exec, exec, s[0:1]
	v_add_u32_e32 v4, 28, v9
	v_cmp_lt_i32_e32 vcc, -1, v4
	v_cmp_gt_i32_e64 s[0:1], s27, v4
	v_add_u32_e32 v3, s4, v3
	s_and_b64 s[16:17], vcc, s[0:1]
	s_and_saveexec_b64 s[0:1], s[16:17]
	s_cbranch_execz .LBB0_7
; %bb.6:
	v_ashrrev_i32_e32 v4, 31, v3
	v_lshlrev_b64 v[10:11], 2, v[3:4]
	s_waitcnt lgkmcnt(0)
	v_mov_b32_e32 v4, s9
	v_add_co_u32_e32 v12, vcc, s8, v10
	v_addc_co_u32_e32 v13, vcc, v4, v11, vcc
	v_mov_b32_e32 v6, s11
	v_add_co_u32_e32 v10, vcc, s10, v10
	global_load_dword v4, v[12:13], off
	v_addc_co_u32_e32 v11, vcc, v6, v11, vcc
	global_load_dword v6, v[10:11], off
	v_lshlrev_b32_e32 v10, 6, v1
	v_add_u32_e32 v11, v5, v10
	v_add_u32_e32 v10, v8, v10
	s_waitcnt vmcnt(1)
	ds_write_b32 v11, v4 offset:2048
	s_waitcnt vmcnt(0)
	ds_write_b32 v10, v6 offset:2048
.LBB0_7:
	s_or_b64 exec, exec, s[0:1]
	v_add_u32_e32 v4, 44, v9
	;; [unrolled: 28-line block ×4, first 2 shown]
	v_cmp_lt_i32_e32 vcc, -1, v4
	v_cmp_gt_i32_e64 s[0:1], s27, v4
	s_and_b64 s[0:1], vcc, s[0:1]
	s_and_b64 exec, exec, s[0:1]
	s_cbranch_execz .LBB0_13
; %bb.12:
	v_add_u32_e32 v3, s4, v3
	v_ashrrev_i32_e32 v4, 31, v3
	v_lshlrev_b64 v[3:4], 2, v[3:4]
	s_waitcnt lgkmcnt(0)
	v_mov_b32_e32 v6, s9
	v_add_co_u32_e32 v10, vcc, s8, v3
	v_addc_co_u32_e32 v11, vcc, v6, v4, vcc
	global_load_dword v6, v[10:11], off
	v_mov_b32_e32 v10, s11
	v_add_co_u32_e32 v3, vcc, s10, v3
	v_addc_co_u32_e32 v4, vcc, v10, v4, vcc
	global_load_dword v3, v[3:4], off
	v_lshlrev_b32_e32 v4, 6, v1
	v_add_u32_e32 v5, v5, v4
	v_add_u32_e32 v4, v8, v4
	s_waitcnt vmcnt(1)
	ds_write_b32 v5, v6 offset:5120
	s_waitcnt vmcnt(0)
	ds_write_b32 v4, v3 offset:5120
.LBB0_13:
	s_or_b64 exec, exec, s[2:3]
	v_lshlrev_b32_e32 v3, 1, v1
	v_and_b32_e32 v16, 1, v0
	v_sub_u32_e32 v20, v3, v16
	v_add_u32_e32 v10, 0x1800, v8
	v_lshlrev_b32_e32 v19, 6, v20
	v_add_u32_e32 v11, v10, v19
	v_add_u32_e32 v12, v8, v19
	v_or_b32_e32 v15, 1, v3
	v_add_u32_e32 v3, 64, v11
	v_add_u32_e32 v5, 64, v12
	s_waitcnt lgkmcnt(0)
	s_barrier
	ds_read2st64_b32 v[3:4], v3 offset1:8
	ds_read2st64_b32 v[5:6], v5 offset1:8
	ds_read_b32 v13, v11 offset:4160
	ds_read_b32 v14, v12 offset:4160
	v_sub_u32_e32 v15, v15, v16
	v_add3_u32 v16, s14, -4, v15
	s_add_i32 s28, s27, -1
	v_cmp_lt_i32_e32 vcc, -1, v16
	s_and_saveexec_b64 s[4:5], vcc
	s_cbranch_execz .LBB0_17
; %bb.14:
	s_movk_i32 s2, 0x5f
	v_cmp_gt_i32_e64 s[0:1], s28, v16
	v_cmp_gt_u32_e64 s[2:3], s2, v15
	s_and_b64 s[2:3], s[2:3], s[0:1]
	s_and_saveexec_b64 s[0:1], s[2:3]
	s_cbranch_execz .LBB0_16
; %bb.15:
	ds_read_b32 v17, v11 offset:128
	ds_read_b32 v18, v12 offset:128
	s_waitcnt lgkmcnt(4)
	v_mul_f32_e32 v21, s25, v5
	s_waitcnt lgkmcnt(1)
	v_fma_f32 v21, s24, v17, -v21
	v_mul_f32_e32 v17, s25, v17
	s_waitcnt lgkmcnt(0)
	v_mul_f32_e32 v22, s24, v18
	v_mul_f32_e32 v18, s25, v18
	v_fmac_f32_e32 v17, s24, v5
	v_fmac_f32_e32 v22, s25, v3
	v_fma_f32 v3, s24, v3, -v18
	v_mov_b32_e32 v5, v17
	ds_write_b32 v11, v21 offset:128
	ds_write_b32 v12, v22 offset:128
.LBB0_16:
	s_or_b64 exec, exec, s[0:1]
.LBB0_17:
	s_or_b64 exec, exec, s[4:5]
	s_movk_i32 s0, 0xffdf
	v_add_u32_e32 v17, 32, v16
	v_cmp_lt_i32_e64 s[0:1], s0, v16
	s_and_saveexec_b64 s[8:9], s[0:1]
	s_cbranch_execz .LBB0_21
; %bb.18:
	v_cmp_gt_i32_e64 s[2:3], s28, v17
	v_cmp_gt_u32_e64 s[4:5], 63, v15
	s_and_b64 s[4:5], s[4:5], s[2:3]
	s_and_saveexec_b64 s[2:3], s[4:5]
	s_cbranch_execz .LBB0_20
; %bb.19:
	ds_read_b32 v18, v11 offset:2176
	ds_read_b32 v21, v12 offset:2176
	s_waitcnt lgkmcnt(4)
	v_mul_f32_e32 v22, s25, v6
	s_waitcnt lgkmcnt(1)
	v_fma_f32 v22, s24, v18, -v22
	v_mul_f32_e32 v18, s25, v18
	s_waitcnt lgkmcnt(0)
	v_mul_f32_e32 v23, s24, v21
	v_mul_f32_e32 v21, s25, v21
	v_fmac_f32_e32 v18, s24, v6
	v_fmac_f32_e32 v23, s25, v4
	v_fma_f32 v4, s24, v4, -v21
	v_mov_b32_e32 v6, v18
	ds_write_b32 v11, v22 offset:2176
	ds_write_b32 v12, v23 offset:2176
.LBB0_20:
	s_or_b64 exec, exec, s[2:3]
.LBB0_21:
	s_or_b64 exec, exec, s[8:9]
	s_movk_i32 s2, 0xffbf
	v_add_u32_e32 v18, 64, v16
	v_cmp_lt_i32_e64 s[2:3], s2, v16
	s_and_saveexec_b64 s[10:11], s[2:3]
	s_cbranch_execz .LBB0_25
; %bb.22:
	v_cmp_gt_i32_e64 s[4:5], s28, v18
	v_cmp_gt_u32_e64 s[8:9], 31, v15
	s_and_b64 s[8:9], s[8:9], s[4:5]
	s_and_saveexec_b64 s[4:5], s[8:9]
	s_cbranch_execz .LBB0_24
; %bb.23:
	ds_read_b32 v21, v11 offset:4224
	ds_read_b32 v22, v12 offset:4224
	s_waitcnt lgkmcnt(2)
	v_mul_f32_e32 v23, s25, v14
	s_waitcnt lgkmcnt(1)
	v_fma_f32 v23, s24, v21, -v23
	v_mul_f32_e32 v21, s25, v21
	s_waitcnt lgkmcnt(0)
	v_mul_f32_e32 v24, s24, v22
	v_mul_f32_e32 v22, s25, v22
	v_fmac_f32_e32 v21, s24, v14
	v_fmac_f32_e32 v24, s25, v13
	v_fma_f32 v13, s24, v13, -v22
	v_mov_b32_e32 v14, v21
	ds_write_b32 v11, v23 offset:4224
	ds_write_b32 v12, v24 offset:4224
.LBB0_24:
	s_or_b64 exec, exec, s[4:5]
.LBB0_25:
	s_or_b64 exec, exec, s[10:11]
	s_add_i32 s8, s26, -1
	v_cmp_gt_i32_e64 s[8:9], s8, v7
	v_cmp_gt_u32_e64 s[4:5], 15, v0
	s_and_b64 s[6:7], s[6:7], s[8:9]
	s_and_b64 s[18:19], s[6:7], s[4:5]
	s_waitcnt lgkmcnt(0)
	s_barrier
	s_and_saveexec_b64 s[4:5], s[18:19]
	s_cbranch_execnz .LBB0_54
; %bb.26:
	s_or_b64 exec, exec, s[4:5]
	s_and_saveexec_b64 s[4:5], s[18:19]
	s_cbranch_execnz .LBB0_55
.LBB0_27:
	s_or_b64 exec, exec, s[4:5]
	s_and_saveexec_b64 s[4:5], s[18:19]
	s_cbranch_execz .LBB0_29
.LBB0_28:
	ds_read_b32 v21, v11 offset:4164
	ds_read_b32 v22, v12 offset:4164
	v_mul_f32_e32 v23, s25, v14
	s_waitcnt lgkmcnt(1)
	v_fma_f32 v23, s24, v21, -v23
	v_mul_f32_e32 v21, s25, v21
	s_waitcnt lgkmcnt(0)
	v_mul_f32_e32 v24, s24, v22
	v_mul_f32_e32 v22, s25, v22
	v_fmac_f32_e32 v21, s24, v14
	v_fmac_f32_e32 v24, s25, v13
	v_fma_f32 v13, s24, v13, -v22
	v_mov_b32_e32 v14, v21
	ds_write_b32 v11, v23 offset:4164
	ds_write_b32 v12, v24 offset:4164
.LBB0_29:
	s_or_b64 exec, exec, s[4:5]
	v_add_u32_e32 v21, -1, v15
	v_cmp_lt_i32_e64 s[6:7], 0, v16
	s_waitcnt lgkmcnt(0)
	s_barrier
	s_and_saveexec_b64 s[10:11], s[6:7]
	s_cbranch_execz .LBB0_33
; %bb.30:
	s_movk_i32 s8, 0x5f
	v_cmp_gt_i32_e64 s[4:5], s27, v16
	v_cmp_gt_u32_e64 s[8:9], s8, v21
	s_and_b64 s[8:9], s[4:5], s[8:9]
	s_and_saveexec_b64 s[4:5], s[8:9]
	s_cbranch_execz .LBB0_32
; %bb.31:
	ds_read_b32 v22, v11
	ds_read_b32 v23, v12
	v_mul_f32_e32 v24, s25, v5
	s_waitcnt lgkmcnt(1)
	v_fma_f32 v24, s24, v22, -v24
	v_mul_f32_e32 v22, s25, v22
	s_waitcnt lgkmcnt(0)
	v_mul_f32_e32 v25, s24, v23
	v_mul_f32_e32 v23, s25, v23
	v_fmac_f32_e32 v22, s24, v5
	v_fmac_f32_e32 v25, s25, v3
	v_fma_f32 v3, s24, v3, -v23
	v_mov_b32_e32 v5, v22
	ds_write_b32 v11, v24
	ds_write_b32 v12, v25
.LBB0_32:
	s_or_b64 exec, exec, s[4:5]
.LBB0_33:
	s_or_b64 exec, exec, s[10:11]
	s_movk_i32 s4, 0xffe0
	v_cmp_lt_i32_e64 s[8:9], s4, v16
	s_and_saveexec_b64 s[14:15], s[8:9]
	s_cbranch_execz .LBB0_37
; %bb.34:
	v_cmp_gt_i32_e64 s[4:5], s27, v17
	v_cmp_gt_u32_e64 s[10:11], 64, v15
	s_and_b64 s[10:11], s[4:5], s[10:11]
	s_and_saveexec_b64 s[4:5], s[10:11]
	s_cbranch_execz .LBB0_36
; %bb.35:
	ds_read_b32 v22, v11 offset:2048
	ds_read_b32 v23, v12 offset:2048
	v_mul_f32_e32 v24, s25, v6
	s_waitcnt lgkmcnt(1)
	v_fma_f32 v24, s24, v22, -v24
	v_mul_f32_e32 v22, s25, v22
	s_waitcnt lgkmcnt(0)
	v_mul_f32_e32 v25, s24, v23
	v_mul_f32_e32 v23, s25, v23
	v_fmac_f32_e32 v22, s24, v6
	v_fmac_f32_e32 v25, s25, v4
	v_fma_f32 v4, s24, v4, -v23
	v_mov_b32_e32 v6, v22
	ds_write_b32 v11, v24 offset:2048
	ds_write_b32 v12, v25 offset:2048
.LBB0_36:
	s_or_b64 exec, exec, s[4:5]
.LBB0_37:
	s_or_b64 exec, exec, s[14:15]
	s_movk_i32 s4, 0xffc0
	v_cmp_lt_i32_e64 s[10:11], s4, v16
	s_and_saveexec_b64 s[16:17], s[10:11]
	s_cbranch_execz .LBB0_41
; %bb.38:
	v_cmp_gt_i32_e64 s[4:5], s27, v18
	v_cmp_gt_u32_e64 s[14:15], 32, v15
	s_and_b64 s[14:15], s[4:5], s[14:15]
	s_and_saveexec_b64 s[4:5], s[14:15]
	s_cbranch_execz .LBB0_40
; %bb.39:
	ds_read_b32 v22, v11 offset:4096
	ds_read_b32 v23, v12 offset:4096
	v_mul_f32_e32 v24, s25, v14
	s_waitcnt lgkmcnt(1)
	v_fma_f32 v24, s24, v22, -v24
	v_mul_f32_e32 v22, s25, v22
	s_waitcnt lgkmcnt(0)
	v_mul_f32_e32 v25, s24, v23
	v_mul_f32_e32 v23, s25, v23
	v_fmac_f32_e32 v22, s24, v14
	v_fmac_f32_e32 v25, s25, v13
	v_fma_f32 v13, s24, v13, -v23
	v_mov_b32_e32 v14, v22
	ds_write_b32 v11, v24 offset:4096
	ds_write_b32 v12, v25 offset:4096
.LBB0_40:
	s_or_b64 exec, exec, s[4:5]
.LBB0_41:
	s_or_b64 exec, exec, s[16:17]
	v_cmp_ne_u32_e64 s[14:15], 0, v0
	v_cmp_lt_i32_e64 s[4:5], 0, v7
	s_and_b64 s[12:13], s[14:15], s[12:13]
	v_cmp_gt_u32_e64 s[16:17], 16, v0
	s_and_b64 s[4:5], s[4:5], s[12:13]
	v_add_u32_e32 v7, -4, v8
	v_add_u32_e32 v22, -4, v10
	s_and_b64 s[4:5], s[4:5], s[16:17]
	s_waitcnt lgkmcnt(0)
	s_barrier
	s_and_saveexec_b64 s[12:13], s[4:5]
	s_cbranch_execz .LBB0_43
; %bb.42:
	v_add_u32_e32 v23, v22, v19
	v_add_u32_e32 v24, v7, v19
	ds_read_b32 v25, v23 offset:64
	ds_read_b32 v26, v24 offset:64
	v_mul_f32_e32 v27, s25, v5
	s_waitcnt lgkmcnt(1)
	v_fma_f32 v27, s24, v25, -v27
	s_waitcnt lgkmcnt(0)
	v_mul_f32_e32 v28, s24, v26
	ds_write_b32 v23, v27 offset:64
	v_mul_f32_e32 v23, s25, v26
	v_fmac_f32_e32 v28, s25, v3
	v_fma_f32 v3, s24, v3, -v23
	v_mul_f32_e32 v23, s25, v25
	v_fmac_f32_e32 v23, s24, v5
	v_mov_b32_e32 v5, v23
	ds_write_b32 v24, v28 offset:64
.LBB0_43:
	s_or_b64 exec, exec, s[12:13]
	v_add_u32_e32 v23, 32, v20
	v_lshlrev_b32_e32 v23, 6, v23
	s_and_saveexec_b64 s[12:13], s[4:5]
	s_cbranch_execz .LBB0_45
; %bb.44:
	v_add_u32_e32 v24, v22, v23
	v_add_u32_e32 v25, v7, v23
	ds_read_b32 v26, v24 offset:64
	ds_read_b32 v27, v25 offset:64
	v_mul_f32_e32 v28, s25, v6
	s_waitcnt lgkmcnt(1)
	v_fma_f32 v28, s24, v26, -v28
	s_waitcnt lgkmcnt(0)
	v_mul_f32_e32 v29, s24, v27
	ds_write_b32 v24, v28 offset:64
	v_mul_f32_e32 v24, s25, v27
	v_fmac_f32_e32 v29, s25, v4
	v_fma_f32 v4, s24, v4, -v24
	v_mul_f32_e32 v24, s25, v26
	v_fmac_f32_e32 v24, s24, v6
	v_mov_b32_e32 v6, v24
	ds_write_b32 v25, v29 offset:64
.LBB0_45:
	s_or_b64 exec, exec, s[12:13]
	v_add_u32_e32 v20, 64, v20
	v_lshlrev_b32_e32 v20, 6, v20
	s_and_saveexec_b64 s[12:13], s[4:5]
	s_cbranch_execz .LBB0_47
; %bb.46:
	v_add_u32_e32 v24, v22, v20
	v_add_u32_e32 v25, v7, v20
	ds_read_b32 v26, v24 offset:64
	ds_read_b32 v27, v25 offset:64
	v_mul_f32_e32 v28, s25, v14
	s_waitcnt lgkmcnt(1)
	v_fma_f32 v28, s24, v26, -v28
	s_waitcnt lgkmcnt(0)
	v_mul_f32_e32 v29, s24, v27
	ds_write_b32 v24, v28 offset:64
	v_mul_f32_e32 v24, s25, v27
	v_fmac_f32_e32 v29, s25, v13
	v_fma_f32 v13, s24, v13, -v24
	v_mul_f32_e32 v24, s25, v26
	v_fmac_f32_e32 v24, s24, v14
	v_mov_b32_e32 v14, v24
	ds_write_b32 v25, v29 offset:64
.LBB0_47:
	s_or_b64 exec, exec, s[12:13]
	s_waitcnt lgkmcnt(0)
	s_barrier
	s_and_saveexec_b64 s[12:13], s[4:5]
	s_cbranch_execnz .LBB0_56
; %bb.48:
	s_or_b64 exec, exec, s[12:13]
	s_and_saveexec_b64 s[12:13], s[4:5]
	s_cbranch_execnz .LBB0_57
.LBB0_49:
	s_or_b64 exec, exec, s[12:13]
	s_and_saveexec_b64 s[12:13], s[4:5]
	s_cbranch_execz .LBB0_51
.LBB0_50:
	v_add_u32_e32 v19, v22, v20
	v_add_u32_e32 v7, v7, v20
	ds_read_b32 v20, v19 offset:64
	ds_read_b32 v22, v7 offset:64
	v_mul_f32_e32 v23, s25, v14
	s_waitcnt lgkmcnt(1)
	v_fma_f32 v23, s24, v20, -v23
	s_waitcnt lgkmcnt(0)
	v_mul_f32_e32 v24, s24, v22
	v_fmac_f32_e32 v24, s25, v13
	ds_write_b32 v7, v24 offset:64
	v_mul_f32_e32 v7, s25, v22
	v_fma_f32 v13, s24, v13, -v7
	v_mul_f32_e32 v7, s25, v20
	v_fmac_f32_e32 v7, s24, v14
	v_mov_b32_e32 v14, v7
	ds_write_b32 v19, v23 offset:64
.LBB0_51:
	s_or_b64 exec, exec, s[12:13]
	s_waitcnt lgkmcnt(0)
	s_barrier
	s_and_saveexec_b64 s[12:13], s[6:7]
	s_cbranch_execnz .LBB0_58
; %bb.52:
	s_or_b64 exec, exec, s[12:13]
	s_and_saveexec_b64 s[12:13], s[8:9]
	s_cbranch_execnz .LBB0_61
.LBB0_53:
	s_or_b64 exec, exec, s[12:13]
	s_and_saveexec_b64 s[8:9], s[10:11]
	s_cbranch_execnz .LBB0_64
	s_branch .LBB0_67
.LBB0_54:
	ds_read_b32 v21, v11 offset:68
	ds_read_b32 v22, v12 offset:68
	v_mul_f32_e32 v23, s25, v5
	s_waitcnt lgkmcnt(1)
	v_fma_f32 v23, s24, v21, -v23
	v_mul_f32_e32 v21, s25, v21
	s_waitcnt lgkmcnt(0)
	v_mul_f32_e32 v24, s24, v22
	v_mul_f32_e32 v22, s25, v22
	v_fmac_f32_e32 v21, s24, v5
	v_fmac_f32_e32 v24, s25, v3
	v_fma_f32 v3, s24, v3, -v22
	v_mov_b32_e32 v5, v21
	ds_write_b32 v11, v23 offset:68
	ds_write_b32 v12, v24 offset:68
	s_or_b64 exec, exec, s[4:5]
	s_and_saveexec_b64 s[4:5], s[18:19]
	s_cbranch_execz .LBB0_27
.LBB0_55:
	ds_read_b32 v21, v11 offset:2116
	ds_read_b32 v22, v12 offset:2116
	v_mul_f32_e32 v23, s25, v6
	s_waitcnt lgkmcnt(1)
	v_fma_f32 v23, s24, v21, -v23
	v_mul_f32_e32 v21, s25, v21
	s_waitcnt lgkmcnt(0)
	v_mul_f32_e32 v24, s24, v22
	v_mul_f32_e32 v22, s25, v22
	v_fmac_f32_e32 v21, s24, v6
	v_fmac_f32_e32 v24, s25, v4
	v_fma_f32 v4, s24, v4, -v22
	v_mov_b32_e32 v6, v21
	ds_write_b32 v11, v23 offset:2116
	ds_write_b32 v12, v24 offset:2116
	s_or_b64 exec, exec, s[4:5]
	s_and_saveexec_b64 s[4:5], s[18:19]
	s_cbranch_execnz .LBB0_28
	s_branch .LBB0_29
.LBB0_56:
	v_add_u32_e32 v24, v22, v19
	v_add_u32_e32 v19, v7, v19
	ds_read_b32 v25, v24 offset:64
	ds_read_b32 v26, v19 offset:64
	v_mul_f32_e32 v27, s25, v5
	s_waitcnt lgkmcnt(1)
	v_fma_f32 v27, s24, v25, -v27
	s_waitcnt lgkmcnt(0)
	v_mul_f32_e32 v28, s24, v26
	v_fmac_f32_e32 v28, s25, v3
	ds_write_b32 v19, v28 offset:64
	v_mul_f32_e32 v19, s25, v26
	v_fma_f32 v3, s24, v3, -v19
	v_mul_f32_e32 v19, s25, v25
	v_fmac_f32_e32 v19, s24, v5
	v_mov_b32_e32 v5, v19
	ds_write_b32 v24, v27 offset:64
	s_or_b64 exec, exec, s[12:13]
	s_and_saveexec_b64 s[12:13], s[4:5]
	s_cbranch_execz .LBB0_49
.LBB0_57:
	v_add_u32_e32 v19, v22, v23
	v_add_u32_e32 v23, v7, v23
	ds_read_b32 v24, v19 offset:64
	ds_read_b32 v25, v23 offset:64
	v_mul_f32_e32 v26, s25, v6
	s_waitcnt lgkmcnt(1)
	v_fma_f32 v26, s24, v24, -v26
	s_waitcnt lgkmcnt(0)
	v_mul_f32_e32 v27, s24, v25
	ds_write_b32 v19, v26 offset:64
	v_mul_f32_e32 v19, s25, v25
	v_fmac_f32_e32 v27, s25, v4
	v_fma_f32 v4, s24, v4, -v19
	v_mul_f32_e32 v19, s25, v24
	v_fmac_f32_e32 v19, s24, v6
	v_mov_b32_e32 v6, v19
	ds_write_b32 v23, v27 offset:64
	s_or_b64 exec, exec, s[12:13]
	s_and_saveexec_b64 s[12:13], s[4:5]
	s_cbranch_execnz .LBB0_50
	s_branch .LBB0_51
.LBB0_58:
	s_movk_i32 s6, 0x5f
	v_cmp_gt_i32_e64 s[4:5], s27, v16
	v_cmp_gt_u32_e64 s[6:7], s6, v21
	s_and_b64 s[6:7], s[4:5], s[6:7]
	s_and_saveexec_b64 s[4:5], s[6:7]
	s_cbranch_execz .LBB0_60
; %bb.59:
	ds_read_b32 v7, v11
	ds_read_b32 v19, v12
	v_mul_f32_e32 v20, s25, v5
	s_waitcnt lgkmcnt(1)
	v_fma_f32 v20, s24, v7, -v20
	v_mul_f32_e32 v7, s25, v7
	s_waitcnt lgkmcnt(0)
	v_mul_f32_e32 v21, s24, v19
	v_mul_f32_e32 v19, s25, v19
	v_fmac_f32_e32 v7, s24, v5
	v_fmac_f32_e32 v21, s25, v3
	v_fma_f32 v3, s24, v3, -v19
	v_mov_b32_e32 v5, v7
	ds_write_b32 v11, v20
	ds_write_b32 v12, v21
.LBB0_60:
	s_or_b64 exec, exec, s[4:5]
	s_or_b64 exec, exec, s[12:13]
	s_and_saveexec_b64 s[12:13], s[8:9]
	s_cbranch_execz .LBB0_53
.LBB0_61:
	v_cmp_gt_i32_e64 s[4:5], s27, v17
	v_cmp_gt_u32_e64 s[6:7], 64, v15
	s_and_b64 s[6:7], s[4:5], s[6:7]
	s_and_saveexec_b64 s[4:5], s[6:7]
	s_cbranch_execz .LBB0_63
; %bb.62:
	ds_read_b32 v7, v11 offset:2048
	ds_read_b32 v19, v12 offset:2048
	v_mul_f32_e32 v20, s25, v6
	s_waitcnt lgkmcnt(1)
	v_fma_f32 v20, s24, v7, -v20
	v_mul_f32_e32 v7, s25, v7
	s_waitcnt lgkmcnt(0)
	v_mul_f32_e32 v21, s24, v19
	v_mul_f32_e32 v19, s25, v19
	v_fmac_f32_e32 v7, s24, v6
	v_fmac_f32_e32 v21, s25, v4
	v_fma_f32 v4, s24, v4, -v19
	v_mov_b32_e32 v6, v7
	ds_write_b32 v11, v20 offset:2048
	ds_write_b32 v12, v21 offset:2048
.LBB0_63:
	s_or_b64 exec, exec, s[4:5]
	s_or_b64 exec, exec, s[12:13]
	s_and_saveexec_b64 s[8:9], s[10:11]
	s_cbranch_execz .LBB0_67
.LBB0_64:
	v_cmp_gt_i32_e64 s[4:5], s27, v18
	v_cmp_gt_u32_e64 s[6:7], 32, v15
	s_and_b64 s[6:7], s[4:5], s[6:7]
	s_and_saveexec_b64 s[4:5], s[6:7]
	s_cbranch_execz .LBB0_66
; %bb.65:
	ds_read_b32 v7, v11 offset:4096
	ds_read_b32 v19, v12 offset:4096
	v_mul_f32_e32 v20, s25, v14
	s_waitcnt lgkmcnt(1)
	v_fma_f32 v20, s24, v7, -v20
	v_mul_f32_e32 v7, s25, v7
	s_waitcnt lgkmcnt(0)
	v_mul_f32_e32 v21, s24, v19
	v_mul_f32_e32 v19, s25, v19
	v_fmac_f32_e32 v7, s24, v14
	v_fmac_f32_e32 v21, s25, v13
	v_fma_f32 v13, s24, v13, -v19
	v_mov_b32_e32 v14, v7
	ds_write_b32 v11, v20 offset:4096
	ds_write_b32 v12, v21 offset:4096
.LBB0_66:
	s_or_b64 exec, exec, s[4:5]
.LBB0_67:
	s_or_b64 exec, exec, s[8:9]
	s_waitcnt lgkmcnt(0)
	s_barrier
	s_and_saveexec_b64 s[4:5], s[18:19]
	s_cbranch_execnz .LBB0_74
; %bb.68:
	s_or_b64 exec, exec, s[4:5]
	s_and_saveexec_b64 s[4:5], s[18:19]
	s_cbranch_execnz .LBB0_75
.LBB0_69:
	s_or_b64 exec, exec, s[4:5]
	s_and_saveexec_b64 s[4:5], s[18:19]
	s_cbranch_execz .LBB0_71
.LBB0_70:
	ds_read_b32 v7, v11 offset:4164
	ds_read_b32 v19, v12 offset:4164
	v_mul_f32_e32 v20, s25, v14
	s_waitcnt lgkmcnt(1)
	v_fma_f32 v20, s24, v7, -v20
	v_mul_f32_e32 v7, s25, v7
	s_waitcnt lgkmcnt(0)
	v_mul_f32_e32 v21, s24, v19
	v_mul_f32_e32 v19, s25, v19
	v_fmac_f32_e32 v7, s24, v14
	v_fmac_f32_e32 v21, s25, v13
	v_fma_f32 v13, s24, v13, -v19
	v_mov_b32_e32 v14, v7
	ds_write_b32 v11, v20 offset:4164
	ds_write_b32 v12, v21 offset:4164
.LBB0_71:
	s_or_b64 exec, exec, s[4:5]
	s_waitcnt lgkmcnt(0)
	s_barrier
	s_and_saveexec_b64 s[6:7], vcc
	s_cbranch_execnz .LBB0_76
; %bb.72:
	s_or_b64 exec, exec, s[6:7]
	s_and_saveexec_b64 s[4:5], s[0:1]
	s_cbranch_execnz .LBB0_79
.LBB0_73:
	s_or_b64 exec, exec, s[4:5]
	s_and_saveexec_b64 s[4:5], s[2:3]
	s_cbranch_execnz .LBB0_82
	s_branch .LBB0_85
.LBB0_74:
	ds_read_b32 v7, v11 offset:68
	ds_read_b32 v19, v12 offset:68
	v_mul_f32_e32 v20, s25, v5
	s_waitcnt lgkmcnt(1)
	v_fma_f32 v20, s24, v7, -v20
	v_mul_f32_e32 v7, s25, v7
	s_waitcnt lgkmcnt(0)
	v_mul_f32_e32 v21, s24, v19
	v_mul_f32_e32 v19, s25, v19
	v_fmac_f32_e32 v7, s24, v5
	v_fmac_f32_e32 v21, s25, v3
	v_fma_f32 v3, s24, v3, -v19
	v_mov_b32_e32 v5, v7
	ds_write_b32 v11, v20 offset:68
	ds_write_b32 v12, v21 offset:68
	s_or_b64 exec, exec, s[4:5]
	s_and_saveexec_b64 s[4:5], s[18:19]
	s_cbranch_execz .LBB0_69
.LBB0_75:
	ds_read_b32 v7, v11 offset:2116
	ds_read_b32 v19, v12 offset:2116
	v_mul_f32_e32 v20, s25, v6
	s_waitcnt lgkmcnt(1)
	v_fma_f32 v20, s24, v7, -v20
	v_mul_f32_e32 v7, s25, v7
	s_waitcnt lgkmcnt(0)
	v_mul_f32_e32 v21, s24, v19
	v_mul_f32_e32 v19, s25, v19
	v_fmac_f32_e32 v7, s24, v6
	v_fmac_f32_e32 v21, s25, v4
	v_fma_f32 v4, s24, v4, -v19
	v_mov_b32_e32 v6, v7
	ds_write_b32 v11, v20 offset:2116
	ds_write_b32 v12, v21 offset:2116
	s_or_b64 exec, exec, s[4:5]
	s_and_saveexec_b64 s[4:5], s[18:19]
	s_cbranch_execnz .LBB0_70
	s_branch .LBB0_71
.LBB0_76:
	s_movk_i32 s4, 0x5f
	v_cmp_gt_i32_e32 vcc, s28, v16
	v_cmp_gt_u32_e64 s[4:5], s4, v15
	s_and_b64 s[8:9], s[4:5], vcc
	s_and_saveexec_b64 s[4:5], s[8:9]
	s_cbranch_execz .LBB0_78
; %bb.77:
	ds_read_b32 v7, v11 offset:128
	ds_read_b32 v16, v12 offset:128
	v_mul_f32_e32 v19, s25, v5
	s_waitcnt lgkmcnt(1)
	v_fma_f32 v19, s24, v7, -v19
	v_mul_f32_e32 v7, s25, v7
	s_waitcnt lgkmcnt(0)
	v_mul_f32_e32 v20, s24, v16
	v_mul_f32_e32 v16, s25, v16
	v_fmac_f32_e32 v7, s24, v5
	v_fmac_f32_e32 v20, s25, v3
	v_fma_f32 v3, s24, v3, -v16
	v_mov_b32_e32 v5, v7
	ds_write_b32 v11, v19 offset:128
	ds_write_b32 v12, v20 offset:128
.LBB0_78:
	s_or_b64 exec, exec, s[4:5]
	s_or_b64 exec, exec, s[6:7]
	s_and_saveexec_b64 s[4:5], s[0:1]
	s_cbranch_execz .LBB0_73
.LBB0_79:
	v_cmp_gt_i32_e32 vcc, s28, v17
	v_cmp_gt_u32_e64 s[0:1], 63, v15
	s_and_b64 s[6:7], s[0:1], vcc
	s_and_saveexec_b64 s[0:1], s[6:7]
	s_cbranch_execz .LBB0_81
; %bb.80:
	ds_read_b32 v7, v11 offset:2176
	ds_read_b32 v16, v12 offset:2176
	v_mul_f32_e32 v17, s25, v6
	s_waitcnt lgkmcnt(1)
	v_fma_f32 v17, s24, v7, -v17
	v_mul_f32_e32 v7, s25, v7
	s_waitcnt lgkmcnt(0)
	v_mul_f32_e32 v19, s24, v16
	v_mul_f32_e32 v16, s25, v16
	v_fmac_f32_e32 v7, s24, v6
	v_fmac_f32_e32 v19, s25, v4
	v_fma_f32 v4, s24, v4, -v16
	v_mov_b32_e32 v6, v7
	ds_write_b32 v11, v17 offset:2176
	ds_write_b32 v12, v19 offset:2176
.LBB0_81:
	s_or_b64 exec, exec, s[0:1]
	s_or_b64 exec, exec, s[4:5]
	s_and_saveexec_b64 s[4:5], s[2:3]
	s_cbranch_execz .LBB0_85
.LBB0_82:
	v_cmp_gt_i32_e32 vcc, s28, v18
	v_cmp_gt_u32_e64 s[0:1], 31, v15
	s_and_b64 s[2:3], s[0:1], vcc
	s_and_saveexec_b64 s[0:1], s[2:3]
	s_cbranch_execz .LBB0_84
; %bb.83:
	ds_read_b32 v7, v11 offset:4224
	ds_read_b32 v15, v12 offset:4224
	v_mul_f32_e32 v16, s25, v14
	s_waitcnt lgkmcnt(1)
	v_fma_f32 v16, s24, v7, -v16
	v_mul_f32_e32 v7, s25, v7
	s_waitcnt lgkmcnt(0)
	v_mul_f32_e32 v17, s24, v15
	v_mul_f32_e32 v15, s25, v15
	v_fmac_f32_e32 v7, s24, v14
	v_fmac_f32_e32 v17, s25, v13
	v_fma_f32 v13, s24, v13, -v15
	v_mov_b32_e32 v14, v7
	ds_write_b32 v11, v16 offset:4224
	ds_write_b32 v12, v17 offset:4224
.LBB0_84:
	s_or_b64 exec, exec, s[0:1]
.LBB0_85:
	s_or_b64 exec, exec, s[4:5]
	v_add_u32_e32 v7, 64, v11
	v_cmp_gt_u32_e32 vcc, 10, v0
	v_cmp_gt_i32_e64 s[0:1], s26, v2
	s_waitcnt lgkmcnt(0)
	s_barrier
	ds_write2st64_b32 v7, v3, v4 offset1:8
	v_add_u32_e32 v3, 64, v12
	s_and_b64 s[0:1], vcc, s[0:1]
	ds_write2st64_b32 v3, v5, v6 offset1:8
	ds_write_b32 v11, v13 offset:4160
	ds_write_b32 v12, v14 offset:4160
	s_waitcnt lgkmcnt(0)
	s_barrier
	s_and_saveexec_b64 s[2:3], s[0:1]
	s_cbranch_execz .LBB0_98
; %bb.86:
	v_mad_u64_u32 v[2:3], s[0:1], s26, v9, v[2:3]
	s_movk_i32 s0, 0x58
	v_cmp_gt_u32_e32 vcc, s0, v1
	v_cmp_gt_i32_e64 s[0:1], s27, v9
	s_and_b64 s[2:3], vcc, s[0:1]
	v_lshlrev_b32_e32 v0, 6, v1
	s_and_saveexec_b64 s[0:1], s[2:3]
	s_cbranch_execz .LBB0_88
; %bb.87:
	v_ashrrev_i32_e32 v3, 31, v2
	v_lshlrev_b64 v[3:4], 2, v[2:3]
	v_add_u32_e32 v7, v8, v0
	v_add_u32_e32 v12, v10, v0
	ds_read_b32 v12, v12 offset:268
	ds_read_b32 v7, v7 offset:268
	v_mov_b32_e32 v6, s23
	v_add_co_u32_e32 v5, vcc, s22, v3
	v_addc_co_u32_e32 v6, vcc, v6, v4, vcc
	v_mov_b32_e32 v11, s21
	v_add_co_u32_e32 v3, vcc, s20, v3
	v_addc_co_u32_e32 v4, vcc, v11, v4, vcc
	s_waitcnt lgkmcnt(1)
	global_store_dword v[3:4], v12, off
	s_waitcnt lgkmcnt(0)
	global_store_dword v[5:6], v7, off
.LBB0_88:
	s_or_b64 exec, exec, s[0:1]
	s_movk_i32 s0, 0x48
	v_add_u32_e32 v3, 16, v9
	s_lshl_b32 s2, s26, 4
	v_cmp_gt_u32_e32 vcc, s0, v1
	v_cmp_gt_i32_e64 s[0:1], s27, v3
	v_add_u32_e32 v2, s2, v2
	s_and_b64 s[4:5], vcc, s[0:1]
	s_and_saveexec_b64 s[0:1], s[4:5]
	s_cbranch_execz .LBB0_90
; %bb.89:
	v_ashrrev_i32_e32 v3, 31, v2
	v_lshlrev_b64 v[3:4], 2, v[2:3]
	v_add_u32_e32 v7, v8, v0
	v_add_u32_e32 v12, v10, v0
	ds_read_b32 v12, v12 offset:1292
	ds_read_b32 v7, v7 offset:1292
	v_mov_b32_e32 v6, s23
	v_add_co_u32_e32 v5, vcc, s22, v3
	v_addc_co_u32_e32 v6, vcc, v6, v4, vcc
	v_mov_b32_e32 v11, s21
	v_add_co_u32_e32 v3, vcc, s20, v3
	v_addc_co_u32_e32 v4, vcc, v11, v4, vcc
	s_waitcnt lgkmcnt(1)
	global_store_dword v[3:4], v12, off
	s_waitcnt lgkmcnt(0)
	global_store_dword v[5:6], v7, off
.LBB0_90:
	s_or_b64 exec, exec, s[0:1]
	v_add_u32_e32 v3, 32, v9
	v_cmp_gt_u32_e32 vcc, 56, v1
	v_cmp_gt_i32_e64 s[0:1], s27, v3
	v_add_u32_e32 v2, s2, v2
	s_and_b64 s[4:5], vcc, s[0:1]
	s_and_saveexec_b64 s[0:1], s[4:5]
	s_cbranch_execz .LBB0_92
; %bb.91:
	v_ashrrev_i32_e32 v3, 31, v2
	v_lshlrev_b64 v[3:4], 2, v[2:3]
	v_add_u32_e32 v7, v8, v0
	v_add_u32_e32 v12, v10, v0
	ds_read_b32 v12, v12 offset:2316
	ds_read_b32 v7, v7 offset:2316
	v_mov_b32_e32 v6, s23
	v_add_co_u32_e32 v5, vcc, s22, v3
	v_addc_co_u32_e32 v6, vcc, v6, v4, vcc
	v_mov_b32_e32 v11, s21
	v_add_co_u32_e32 v3, vcc, s20, v3
	v_addc_co_u32_e32 v4, vcc, v11, v4, vcc
	s_waitcnt lgkmcnt(1)
	global_store_dword v[3:4], v12, off
	s_waitcnt lgkmcnt(0)
	global_store_dword v[5:6], v7, off
.LBB0_92:
	s_or_b64 exec, exec, s[0:1]
	v_add_u32_e32 v3, 48, v9
	v_cmp_gt_u32_e32 vcc, 40, v1
	v_cmp_gt_i32_e64 s[0:1], s27, v3
	v_add_u32_e32 v2, s2, v2
	s_and_b64 s[4:5], vcc, s[0:1]
	s_and_saveexec_b64 s[0:1], s[4:5]
	s_cbranch_execz .LBB0_94
; %bb.93:
	v_ashrrev_i32_e32 v3, 31, v2
	v_lshlrev_b64 v[3:4], 2, v[2:3]
	v_add_u32_e32 v7, v8, v0
	v_add_u32_e32 v12, v10, v0
	ds_read_b32 v12, v12 offset:3340
	ds_read_b32 v7, v7 offset:3340
	v_mov_b32_e32 v6, s23
	v_add_co_u32_e32 v5, vcc, s22, v3
	v_addc_co_u32_e32 v6, vcc, v6, v4, vcc
	v_mov_b32_e32 v11, s21
	v_add_co_u32_e32 v3, vcc, s20, v3
	v_addc_co_u32_e32 v4, vcc, v11, v4, vcc
	s_waitcnt lgkmcnt(1)
	global_store_dword v[3:4], v12, off
	s_waitcnt lgkmcnt(0)
	global_store_dword v[5:6], v7, off
.LBB0_94:
	s_or_b64 exec, exec, s[0:1]
	v_add_u32_e32 v3, 64, v9
	v_cmp_gt_u32_e32 vcc, 24, v1
	v_cmp_gt_i32_e64 s[0:1], s27, v3
	v_add_u32_e32 v2, s2, v2
	s_and_b64 s[4:5], vcc, s[0:1]
	s_and_saveexec_b64 s[0:1], s[4:5]
	s_cbranch_execz .LBB0_96
; %bb.95:
	v_ashrrev_i32_e32 v3, 31, v2
	v_lshlrev_b64 v[3:4], 2, v[2:3]
	v_add_u32_e32 v7, v8, v0
	v_add_u32_e32 v12, v10, v0
	ds_read_b32 v12, v12 offset:4364
	ds_read_b32 v7, v7 offset:4364
	v_mov_b32_e32 v6, s23
	v_add_co_u32_e32 v5, vcc, s22, v3
	v_addc_co_u32_e32 v6, vcc, v6, v4, vcc
	v_mov_b32_e32 v11, s21
	v_add_co_u32_e32 v3, vcc, s20, v3
	v_addc_co_u32_e32 v4, vcc, v11, v4, vcc
	s_waitcnt lgkmcnt(1)
	global_store_dword v[3:4], v12, off
	s_waitcnt lgkmcnt(0)
	global_store_dword v[5:6], v7, off
.LBB0_96:
	s_or_b64 exec, exec, s[0:1]
	v_cmp_gt_u32_e32 vcc, 8, v1
	v_add_u32_e32 v1, 0x50, v9
	v_cmp_gt_i32_e64 s[0:1], s27, v1
	s_and_b64 s[0:1], vcc, s[0:1]
	s_and_b64 exec, exec, s[0:1]
	s_cbranch_execz .LBB0_98
; %bb.97:
	v_add_u32_e32 v1, s2, v2
	v_ashrrev_i32_e32 v2, 31, v1
	v_lshlrev_b64 v[1:2], 2, v[1:2]
	v_add_u32_e32 v5, v8, v0
	v_add_u32_e32 v0, v10, v0
	ds_read_b32 v7, v0 offset:5388
	ds_read_b32 v5, v5 offset:5388
	v_mov_b32_e32 v4, s23
	v_add_co_u32_e32 v3, vcc, s22, v1
	v_addc_co_u32_e32 v4, vcc, v4, v2, vcc
	v_mov_b32_e32 v6, s21
	v_add_co_u32_e32 v0, vcc, s20, v1
	v_addc_co_u32_e32 v1, vcc, v6, v2, vcc
	s_waitcnt lgkmcnt(1)
	global_store_dword v[0:1], v7, off
	s_waitcnt lgkmcnt(0)
	global_store_dword v[3:4], v5, off
.LBB0_98:
	s_endpgm
	.section	.rodata,"a",@progbits
	.p2align	6, 0x0
	.amdhsa_kernel _Z6kernelIfLi1ELi16ELi96ELi3ELi4ELi16EEvT_S0_iiPKS0_S2_PS0_S3_
		.amdhsa_group_segment_fixed_size 12288
		.amdhsa_private_segment_fixed_size 0
		.amdhsa_kernarg_size 48
		.amdhsa_user_sgpr_count 6
		.amdhsa_user_sgpr_private_segment_buffer 1
		.amdhsa_user_sgpr_dispatch_ptr 0
		.amdhsa_user_sgpr_queue_ptr 0
		.amdhsa_user_sgpr_kernarg_segment_ptr 1
		.amdhsa_user_sgpr_dispatch_id 0
		.amdhsa_user_sgpr_flat_scratch_init 0
		.amdhsa_user_sgpr_private_segment_size 0
		.amdhsa_uses_dynamic_stack 0
		.amdhsa_system_sgpr_private_segment_wavefront_offset 0
		.amdhsa_system_sgpr_workgroup_id_x 1
		.amdhsa_system_sgpr_workgroup_id_y 1
		.amdhsa_system_sgpr_workgroup_id_z 0
		.amdhsa_system_sgpr_workgroup_info 0
		.amdhsa_system_vgpr_workitem_id 1
		.amdhsa_next_free_vgpr 30
		.amdhsa_next_free_sgpr 61
		.amdhsa_reserve_vcc 1
		.amdhsa_reserve_flat_scratch 0
		.amdhsa_float_round_mode_32 0
		.amdhsa_float_round_mode_16_64 0
		.amdhsa_float_denorm_mode_32 3
		.amdhsa_float_denorm_mode_16_64 3
		.amdhsa_dx10_clamp 1
		.amdhsa_ieee_mode 1
		.amdhsa_fp16_overflow 0
		.amdhsa_exception_fp_ieee_invalid_op 0
		.amdhsa_exception_fp_denorm_src 0
		.amdhsa_exception_fp_ieee_div_zero 0
		.amdhsa_exception_fp_ieee_overflow 0
		.amdhsa_exception_fp_ieee_underflow 0
		.amdhsa_exception_fp_ieee_inexact 0
		.amdhsa_exception_int_div_zero 0
	.end_amdhsa_kernel
	.section	.text._Z6kernelIfLi1ELi16ELi96ELi3ELi4ELi16EEvT_S0_iiPKS0_S2_PS0_S3_,"axG",@progbits,_Z6kernelIfLi1ELi16ELi96ELi3ELi4ELi16EEvT_S0_iiPKS0_S2_PS0_S3_,comdat
.Lfunc_end0:
	.size	_Z6kernelIfLi1ELi16ELi96ELi3ELi4ELi16EEvT_S0_iiPKS0_S2_PS0_S3_, .Lfunc_end0-_Z6kernelIfLi1ELi16ELi96ELi3ELi4ELi16EEvT_S0_iiPKS0_S2_PS0_S3_
                                        ; -- End function
	.set _Z6kernelIfLi1ELi16ELi96ELi3ELi4ELi16EEvT_S0_iiPKS0_S2_PS0_S3_.num_vgpr, 30
	.set _Z6kernelIfLi1ELi16ELi96ELi3ELi4ELi16EEvT_S0_iiPKS0_S2_PS0_S3_.num_agpr, 0
	.set _Z6kernelIfLi1ELi16ELi96ELi3ELi4ELi16EEvT_S0_iiPKS0_S2_PS0_S3_.numbered_sgpr, 29
	.set _Z6kernelIfLi1ELi16ELi96ELi3ELi4ELi16EEvT_S0_iiPKS0_S2_PS0_S3_.num_named_barrier, 0
	.set _Z6kernelIfLi1ELi16ELi96ELi3ELi4ELi16EEvT_S0_iiPKS0_S2_PS0_S3_.private_seg_size, 0
	.set _Z6kernelIfLi1ELi16ELi96ELi3ELi4ELi16EEvT_S0_iiPKS0_S2_PS0_S3_.uses_vcc, 1
	.set _Z6kernelIfLi1ELi16ELi96ELi3ELi4ELi16EEvT_S0_iiPKS0_S2_PS0_S3_.uses_flat_scratch, 0
	.set _Z6kernelIfLi1ELi16ELi96ELi3ELi4ELi16EEvT_S0_iiPKS0_S2_PS0_S3_.has_dyn_sized_stack, 0
	.set _Z6kernelIfLi1ELi16ELi96ELi3ELi4ELi16EEvT_S0_iiPKS0_S2_PS0_S3_.has_recursion, 0
	.set _Z6kernelIfLi1ELi16ELi96ELi3ELi4ELi16EEvT_S0_iiPKS0_S2_PS0_S3_.has_indirect_call, 0
	.section	.AMDGPU.csdata,"",@progbits
; Kernel info:
; codeLenInByte = 4900
; TotalNumSgprs: 33
; NumVgprs: 30
; ScratchSize: 0
; MemoryBound: 0
; FloatMode: 240
; IeeeMode: 1
; LDSByteSize: 12288 bytes/workgroup (compile time only)
; SGPRBlocks: 8
; VGPRBlocks: 7
; NumSGPRsForWavesPerEU: 65
; NumVGPRsForWavesPerEU: 30
; Occupancy: 8
; WaveLimiterHint : 0
; COMPUTE_PGM_RSRC2:SCRATCH_EN: 0
; COMPUTE_PGM_RSRC2:USER_SGPR: 6
; COMPUTE_PGM_RSRC2:TRAP_HANDLER: 0
; COMPUTE_PGM_RSRC2:TGID_X_EN: 1
; COMPUTE_PGM_RSRC2:TGID_Y_EN: 1
; COMPUTE_PGM_RSRC2:TGID_Z_EN: 0
; COMPUTE_PGM_RSRC2:TIDIG_COMP_CNT: 1
	.section	.text._Z6kernelIdLi1ELi16ELi32ELi3ELi4ELi16EEvT_S0_iiPKS0_S2_PS0_S3_,"axG",@progbits,_Z6kernelIdLi1ELi16ELi32ELi3ELi4ELi16EEvT_S0_iiPKS0_S2_PS0_S3_,comdat
	.protected	_Z6kernelIdLi1ELi16ELi32ELi3ELi4ELi16EEvT_S0_iiPKS0_S2_PS0_S3_ ; -- Begin function _Z6kernelIdLi1ELi16ELi32ELi3ELi4ELi16EEvT_S0_iiPKS0_S2_PS0_S3_
	.globl	_Z6kernelIdLi1ELi16ELi32ELi3ELi4ELi16EEvT_S0_iiPKS0_S2_PS0_S3_
	.p2align	8
	.type	_Z6kernelIdLi1ELi16ELi32ELi3ELi4ELi16EEvT_S0_iiPKS0_S2_PS0_S3_,@function
_Z6kernelIdLi1ELi16ELi32ELi3ELi4ELi16EEvT_S0_iiPKS0_S2_PS0_S3_: ; @_Z6kernelIdLi1ELi16ELi32ELi3ELi4ELi16EEvT_S0_iiPKS0_S2_PS0_S3_
; %bb.0:
	v_mad_u64_u32 v[6:7], s[0:1], s6, 10, v[0:1]
	s_load_dwordx2 s[16:17], s[4:5], 0x10
	s_load_dwordx4 s[8:11], s[4:5], 0x28
	s_mul_i32 s20, s7, 24
	v_add_u32_e32 v7, -3, v6
	v_cmp_lt_i32_e64 s[0:1], -1, v7
	s_waitcnt lgkmcnt(0)
	v_cmp_gt_i32_e32 vcc, s16, v7
	v_add_u32_e32 v9, s20, v1
	s_and_b64 s[2:3], s[0:1], vcc
	v_lshlrev_b32_e32 v8, 3, v0
	s_and_saveexec_b64 s[18:19], s[2:3]
	s_cbranch_execz .LBB1_5
; %bb.1:
	s_load_dwordx4 s[12:15], s[4:5], 0x18
	v_add_u32_e32 v5, -4, v9
	v_mad_u64_u32 v[2:3], s[2:3], s16, v5, v[7:8]
	v_cmp_lt_i32_e64 s[2:3], -1, v5
	v_cmp_gt_i32_e64 s[6:7], s17, v5
	v_add_u32_e32 v4, 0x1000, v8
	s_and_b64 s[2:3], s[2:3], s[6:7]
	s_and_saveexec_b64 s[6:7], s[2:3]
	s_cbranch_execz .LBB1_3
; %bb.2:
	v_ashrrev_i32_e32 v3, 31, v2
	v_lshlrev_b64 v[10:11], 3, v[2:3]
	s_waitcnt lgkmcnt(0)
	v_mov_b32_e32 v3, s13
	v_add_co_u32_e64 v12, s[2:3], s12, v10
	v_addc_co_u32_e64 v13, s[2:3], v3, v11, s[2:3]
	v_mov_b32_e32 v3, s15
	v_add_co_u32_e64 v10, s[2:3], s14, v10
	global_load_dwordx2 v[12:13], v[12:13], off
	v_addc_co_u32_e64 v11, s[2:3], v3, v11, s[2:3]
	global_load_dwordx2 v[10:11], v[10:11], off
	v_lshlrev_b32_e32 v3, 7, v1
	v_add_u32_e32 v5, v4, v3
	v_add_u32_e32 v3, v8, v3
	s_waitcnt vmcnt(1)
	ds_write_b64 v5, v[12:13]
	s_waitcnt vmcnt(0)
	ds_write_b64 v3, v[10:11]
.LBB1_3:
	s_or_b64 exec, exec, s[6:7]
	v_add_u32_e32 v3, 12, v9
	v_cmp_lt_i32_e64 s[2:3], -1, v3
	v_cmp_gt_i32_e64 s[6:7], s17, v3
	s_and_b64 s[2:3], s[2:3], s[6:7]
	s_and_b64 exec, exec, s[2:3]
	s_cbranch_execz .LBB1_5
; %bb.4:
	v_lshl_add_u32 v2, s16, 4, v2
	v_ashrrev_i32_e32 v3, 31, v2
	v_lshlrev_b64 v[2:3], 3, v[2:3]
	s_waitcnt lgkmcnt(0)
	v_mov_b32_e32 v5, s13
	v_add_co_u32_e64 v10, s[2:3], s12, v2
	v_addc_co_u32_e64 v11, s[2:3], v5, v3, s[2:3]
	v_mov_b32_e32 v5, s15
	v_add_co_u32_e64 v2, s[2:3], s14, v2
	global_load_dwordx2 v[10:11], v[10:11], off
	v_addc_co_u32_e64 v3, s[2:3], v5, v3, s[2:3]
	global_load_dwordx2 v[2:3], v[2:3], off
	v_lshlrev_b32_e32 v5, 7, v1
	v_add_u32_e32 v4, v4, v5
	v_add_u32_e32 v5, v8, v5
	s_waitcnt vmcnt(1)
	ds_write_b64 v4, v[10:11] offset:2048
	s_waitcnt vmcnt(0)
	ds_write_b64 v5, v[2:3] offset:2048
.LBB1_5:
	s_or_b64 exec, exec, s[18:19]
	v_lshlrev_b32_e32 v2, 1, v1
	v_and_b32_e32 v14, 1, v0
	v_or_b32_e32 v12, 1, v2
	v_sub_u32_e32 v2, v2, v14
	v_lshl_add_u32 v10, v2, 7, v8
	v_add_u32_e32 v2, 0x80, v10
	s_waitcnt lgkmcnt(0)
	s_load_dwordx4 s[12:15], s[4:5], 0x0
	s_waitcnt lgkmcnt(0)
	s_barrier
	v_sub_u32_e32 v13, v12, v14
	ds_read2st64_b64 v[2:5], v2 offset1:8
	v_add3_u32 v15, s20, -4, v13
	s_add_i32 s4, s17, -1
	v_cmp_lt_i32_e64 s[2:3], -1, v15
	v_cmp_gt_i32_e64 s[4:5], s4, v15
	v_cmp_gt_u32_e64 s[6:7], 31, v13
	s_and_b64 s[2:3], s[2:3], s[4:5]
	v_add_u32_e32 v11, 0x1000, v10
	s_and_b64 s[6:7], s[2:3], s[6:7]
	s_and_saveexec_b64 s[2:3], s[6:7]
	s_cbranch_execz .LBB1_7
; %bb.6:
	ds_read_b64 v[16:17], v10 offset:256
	ds_read_b64 v[18:19], v11 offset:256
	s_waitcnt lgkmcnt(2)
	v_mul_f64 v[20:21], s[14:15], v[2:3]
	s_waitcnt lgkmcnt(1)
	v_mul_f64 v[22:23], s[12:13], v[16:17]
	v_mul_f64 v[16:17], s[14:15], v[16:17]
	s_waitcnt lgkmcnt(0)
	v_mul_f64 v[24:25], s[14:15], v[18:19]
	v_fma_f64 v[18:19], s[12:13], v[18:19], -v[20:21]
	v_fma_f64 v[20:21], s[14:15], v[4:5], v[22:23]
	v_fma_f64 v[4:5], s[12:13], v[4:5], -v[16:17]
	v_fma_f64 v[2:3], s[12:13], v[2:3], v[24:25]
	ds_write_b64 v11, v[18:19] offset:256
	ds_write_b64 v10, v[20:21] offset:256
.LBB1_7:
	s_or_b64 exec, exec, s[2:3]
	s_add_i32 s2, s16, -1
	v_cmp_gt_i32_e64 s[2:3], s2, v7
	v_cmp_gt_u32_e64 s[4:5], 15, v0
	s_and_b64 s[0:1], s[0:1], s[2:3]
	s_and_b64 s[18:19], s[0:1], s[4:5]
	s_waitcnt lgkmcnt(0)
	s_barrier
	s_and_saveexec_b64 s[0:1], s[18:19]
	s_cbranch_execz .LBB1_9
; %bb.8:
	ds_read_b64 v[16:17], v10 offset:136
	ds_read_b64 v[18:19], v11 offset:136
	v_mul_f64 v[20:21], s[14:15], v[2:3]
	s_waitcnt lgkmcnt(1)
	v_mul_f64 v[22:23], s[12:13], v[16:17]
	v_mul_f64 v[16:17], s[14:15], v[16:17]
	s_waitcnt lgkmcnt(0)
	v_mul_f64 v[24:25], s[14:15], v[18:19]
	v_fma_f64 v[18:19], s[12:13], v[18:19], -v[20:21]
	v_fma_f64 v[20:21], s[14:15], v[4:5], v[22:23]
	v_fma_f64 v[4:5], s[12:13], v[4:5], -v[16:17]
	v_fma_f64 v[2:3], s[12:13], v[2:3], v[24:25]
	ds_write_b64 v11, v[18:19] offset:136
	ds_write_b64 v10, v[20:21] offset:136
.LBB1_9:
	s_or_b64 exec, exec, s[0:1]
	v_cmp_gt_i32_e64 s[2:3], s17, v15
	v_cmp_ne_u32_e64 s[4:5], v12, v14
	v_cmp_lt_i32_e64 s[0:1], 0, v15
	s_and_b64 s[4:5], s[4:5], s[2:3]
	v_cmp_gt_u32_e64 s[2:3], 32, v13
	s_and_b64 s[0:1], s[0:1], s[4:5]
	s_and_b64 s[4:5], s[0:1], s[2:3]
	s_waitcnt lgkmcnt(0)
	s_barrier
	s_and_saveexec_b64 s[0:1], s[4:5]
	s_cbranch_execz .LBB1_11
; %bb.10:
	ds_read_b64 v[12:13], v10
	ds_read_b64 v[14:15], v11
	v_mul_f64 v[16:17], s[14:15], v[2:3]
	s_waitcnt lgkmcnt(1)
	v_mul_f64 v[18:19], s[12:13], v[12:13]
	v_mul_f64 v[12:13], s[14:15], v[12:13]
	s_waitcnt lgkmcnt(0)
	v_mul_f64 v[20:21], s[14:15], v[14:15]
	v_fma_f64 v[14:15], s[12:13], v[14:15], -v[16:17]
	v_fma_f64 v[16:17], s[14:15], v[4:5], v[18:19]
	v_fma_f64 v[4:5], s[12:13], v[4:5], -v[12:13]
	v_fma_f64 v[2:3], s[12:13], v[2:3], v[20:21]
	ds_write_b64 v11, v[14:15]
	ds_write_b64 v10, v[16:17]
.LBB1_11:
	s_or_b64 exec, exec, s[0:1]
	v_cmp_ne_u32_e64 s[2:3], 0, v0
	v_cmp_lt_i32_e64 s[0:1], 0, v7
	s_and_b64 s[2:3], s[2:3], vcc
	v_cmp_gt_u32_e32 vcc, 16, v0
	s_and_b64 s[0:1], s[0:1], s[2:3]
	s_and_b64 s[0:1], s[0:1], vcc
	s_waitcnt lgkmcnt(0)
	s_barrier
	s_and_saveexec_b64 s[2:3], s[0:1]
	s_cbranch_execz .LBB1_13
; %bb.12:
	ds_read_b64 v[12:13], v10 offset:120
	ds_read_b64 v[14:15], v11 offset:120
	v_mul_f64 v[16:17], s[14:15], v[2:3]
	s_waitcnt lgkmcnt(1)
	v_mul_f64 v[18:19], s[12:13], v[12:13]
	v_mul_f64 v[12:13], s[14:15], v[12:13]
	s_waitcnt lgkmcnt(0)
	v_mul_f64 v[20:21], s[14:15], v[14:15]
	v_fma_f64 v[14:15], s[12:13], v[14:15], -v[16:17]
	v_fma_f64 v[16:17], s[14:15], v[4:5], v[18:19]
	v_fma_f64 v[4:5], s[12:13], v[4:5], -v[12:13]
	v_fma_f64 v[2:3], s[12:13], v[2:3], v[20:21]
	ds_write_b64 v11, v[14:15] offset:120
	ds_write_b64 v10, v[16:17] offset:120
.LBB1_13:
	s_or_b64 exec, exec, s[2:3]
	s_waitcnt lgkmcnt(0)
	s_barrier
	s_and_saveexec_b64 s[2:3], s[0:1]
	s_cbranch_execz .LBB1_15
; %bb.14:
	ds_read_b64 v[12:13], v10 offset:120
	ds_read_b64 v[14:15], v11 offset:120
	v_mul_f64 v[16:17], s[14:15], v[2:3]
	s_waitcnt lgkmcnt(1)
	v_mul_f64 v[18:19], s[12:13], v[12:13]
	v_mul_f64 v[12:13], s[14:15], v[12:13]
	s_waitcnt lgkmcnt(0)
	v_mul_f64 v[20:21], s[14:15], v[14:15]
	v_fma_f64 v[14:15], s[12:13], v[14:15], -v[16:17]
	v_fma_f64 v[16:17], s[14:15], v[4:5], v[18:19]
	v_fma_f64 v[4:5], s[12:13], v[4:5], -v[12:13]
	v_fma_f64 v[2:3], s[12:13], v[2:3], v[20:21]
	ds_write_b64 v11, v[14:15] offset:120
	ds_write_b64 v10, v[16:17] offset:120
.LBB1_15:
	s_or_b64 exec, exec, s[2:3]
	s_waitcnt lgkmcnt(0)
	s_barrier
	s_and_saveexec_b64 s[0:1], s[4:5]
	s_cbranch_execz .LBB1_17
; %bb.16:
	ds_read_b64 v[12:13], v10
	ds_read_b64 v[14:15], v11
	v_mul_f64 v[16:17], s[14:15], v[2:3]
	s_waitcnt lgkmcnt(1)
	v_mul_f64 v[18:19], s[12:13], v[12:13]
	v_mul_f64 v[12:13], s[14:15], v[12:13]
	s_waitcnt lgkmcnt(0)
	v_mul_f64 v[20:21], s[14:15], v[14:15]
	v_fma_f64 v[14:15], s[12:13], v[14:15], -v[16:17]
	v_fma_f64 v[16:17], s[14:15], v[4:5], v[18:19]
	v_fma_f64 v[4:5], s[12:13], v[4:5], -v[12:13]
	v_fma_f64 v[2:3], s[12:13], v[2:3], v[20:21]
	ds_write_b64 v11, v[14:15]
	ds_write_b64 v10, v[16:17]
.LBB1_17:
	s_or_b64 exec, exec, s[0:1]
	s_waitcnt lgkmcnt(0)
	s_barrier
	s_and_saveexec_b64 s[0:1], s[18:19]
	s_cbranch_execz .LBB1_19
; %bb.18:
	ds_read_b64 v[12:13], v10 offset:136
	ds_read_b64 v[14:15], v11 offset:136
	v_mul_f64 v[16:17], s[14:15], v[2:3]
	s_waitcnt lgkmcnt(1)
	v_mul_f64 v[18:19], s[12:13], v[12:13]
	v_mul_f64 v[12:13], s[14:15], v[12:13]
	s_waitcnt lgkmcnt(0)
	v_mul_f64 v[20:21], s[14:15], v[14:15]
	v_fma_f64 v[14:15], s[12:13], v[14:15], -v[16:17]
	v_fma_f64 v[16:17], s[14:15], v[4:5], v[18:19]
	v_fma_f64 v[4:5], s[12:13], v[4:5], -v[12:13]
	v_fma_f64 v[2:3], s[12:13], v[2:3], v[20:21]
	ds_write_b64 v11, v[14:15] offset:136
	ds_write_b64 v10, v[16:17] offset:136
.LBB1_19:
	s_or_b64 exec, exec, s[0:1]
	s_waitcnt lgkmcnt(0)
	s_barrier
	s_and_saveexec_b64 s[0:1], s[6:7]
	s_cbranch_execz .LBB1_21
; %bb.20:
	ds_read_b64 v[12:13], v10 offset:256
	ds_read_b64 v[14:15], v11 offset:256
	v_mul_f64 v[16:17], s[14:15], v[2:3]
	s_waitcnt lgkmcnt(1)
	v_mul_f64 v[18:19], s[12:13], v[12:13]
	v_mul_f64 v[12:13], s[14:15], v[12:13]
	s_waitcnt lgkmcnt(0)
	v_mul_f64 v[20:21], s[14:15], v[14:15]
	v_fma_f64 v[14:15], s[12:13], v[14:15], -v[16:17]
	v_fma_f64 v[16:17], s[14:15], v[4:5], v[18:19]
	v_fma_f64 v[4:5], s[12:13], v[4:5], -v[12:13]
	v_fma_f64 v[2:3], s[12:13], v[2:3], v[20:21]
	ds_write_b64 v11, v[14:15] offset:256
	ds_write_b64 v10, v[16:17] offset:256
.LBB1_21:
	s_or_b64 exec, exec, s[0:1]
	v_cmp_gt_u32_e32 vcc, 10, v0
	v_cmp_gt_i32_e64 s[0:1], s16, v6
	s_and_b64 s[0:1], vcc, s[0:1]
	s_waitcnt lgkmcnt(0)
	s_barrier
	ds_write_b64 v11, v[4:5] offset:128
	ds_write_b64 v10, v[2:3] offset:128
	s_waitcnt lgkmcnt(0)
	s_barrier
	s_and_saveexec_b64 s[2:3], s[0:1]
	s_cbranch_execz .LBB1_26
; %bb.22:
	v_mad_u64_u32 v[2:3], s[0:1], s16, v9, v[6:7]
	v_cmp_gt_u32_e32 vcc, 24, v1
	v_cmp_gt_i32_e64 s[0:1], s17, v9
	v_add_u32_e32 v0, 0x1000, v8
	s_and_b64 s[2:3], vcc, s[0:1]
	v_lshlrev_b32_e32 v4, 7, v1
	s_and_saveexec_b64 s[0:1], s[2:3]
	s_cbranch_execz .LBB1_24
; %bb.23:
	v_ashrrev_i32_e32 v3, 31, v2
	v_lshlrev_b64 v[5:6], 3, v[2:3]
	v_mov_b32_e32 v3, s11
	v_add_co_u32_e32 v10, vcc, s10, v5
	v_add_u32_e32 v12, v0, v4
	v_addc_co_u32_e32 v11, vcc, v3, v6, vcc
	v_add_u32_e32 v3, v8, v4
	ds_read_b64 v[12:13], v12 offset:536
	ds_read_b64 v[14:15], v3 offset:536
	v_mov_b32_e32 v7, s9
	v_add_co_u32_e32 v5, vcc, s8, v5
	v_addc_co_u32_e32 v6, vcc, v7, v6, vcc
	s_waitcnt lgkmcnt(1)
	global_store_dwordx2 v[5:6], v[12:13], off
	s_waitcnt lgkmcnt(0)
	global_store_dwordx2 v[10:11], v[14:15], off
.LBB1_24:
	s_or_b64 exec, exec, s[0:1]
	v_cmp_gt_u32_e32 vcc, 8, v1
	v_add_u32_e32 v1, 16, v9
	v_cmp_gt_i32_e64 s[0:1], s17, v1
	s_and_b64 s[0:1], vcc, s[0:1]
	s_and_b64 exec, exec, s[0:1]
	s_cbranch_execz .LBB1_26
; %bb.25:
	v_lshl_add_u32 v1, s16, 4, v2
	v_ashrrev_i32_e32 v2, 31, v1
	v_lshlrev_b64 v[1:2], 3, v[1:2]
	v_mov_b32_e32 v3, s11
	v_add_co_u32_e32 v5, vcc, s10, v1
	v_add_u32_e32 v7, v8, v4
	v_add_u32_e32 v0, v0, v4
	v_addc_co_u32_e32 v6, vcc, v3, v2, vcc
	ds_read_b64 v[3:4], v0 offset:2584
	ds_read_b64 v[7:8], v7 offset:2584
	v_mov_b32_e32 v9, s9
	v_add_co_u32_e32 v0, vcc, s8, v1
	v_addc_co_u32_e32 v1, vcc, v9, v2, vcc
	s_waitcnt lgkmcnt(1)
	global_store_dwordx2 v[0:1], v[3:4], off
	s_waitcnt lgkmcnt(0)
	global_store_dwordx2 v[5:6], v[7:8], off
.LBB1_26:
	s_endpgm
	.section	.rodata,"a",@progbits
	.p2align	6, 0x0
	.amdhsa_kernel _Z6kernelIdLi1ELi16ELi32ELi3ELi4ELi16EEvT_S0_iiPKS0_S2_PS0_S3_
		.amdhsa_group_segment_fixed_size 8192
		.amdhsa_private_segment_fixed_size 0
		.amdhsa_kernarg_size 56
		.amdhsa_user_sgpr_count 6
		.amdhsa_user_sgpr_private_segment_buffer 1
		.amdhsa_user_sgpr_dispatch_ptr 0
		.amdhsa_user_sgpr_queue_ptr 0
		.amdhsa_user_sgpr_kernarg_segment_ptr 1
		.amdhsa_user_sgpr_dispatch_id 0
		.amdhsa_user_sgpr_flat_scratch_init 0
		.amdhsa_user_sgpr_private_segment_size 0
		.amdhsa_uses_dynamic_stack 0
		.amdhsa_system_sgpr_private_segment_wavefront_offset 0
		.amdhsa_system_sgpr_workgroup_id_x 1
		.amdhsa_system_sgpr_workgroup_id_y 1
		.amdhsa_system_sgpr_workgroup_id_z 0
		.amdhsa_system_sgpr_workgroup_info 0
		.amdhsa_system_vgpr_workitem_id 1
		.amdhsa_next_free_vgpr 29
		.amdhsa_next_free_sgpr 61
		.amdhsa_reserve_vcc 1
		.amdhsa_reserve_flat_scratch 0
		.amdhsa_float_round_mode_32 0
		.amdhsa_float_round_mode_16_64 0
		.amdhsa_float_denorm_mode_32 3
		.amdhsa_float_denorm_mode_16_64 3
		.amdhsa_dx10_clamp 1
		.amdhsa_ieee_mode 1
		.amdhsa_fp16_overflow 0
		.amdhsa_exception_fp_ieee_invalid_op 0
		.amdhsa_exception_fp_denorm_src 0
		.amdhsa_exception_fp_ieee_div_zero 0
		.amdhsa_exception_fp_ieee_overflow 0
		.amdhsa_exception_fp_ieee_underflow 0
		.amdhsa_exception_fp_ieee_inexact 0
		.amdhsa_exception_int_div_zero 0
	.end_amdhsa_kernel
	.section	.text._Z6kernelIdLi1ELi16ELi32ELi3ELi4ELi16EEvT_S0_iiPKS0_S2_PS0_S3_,"axG",@progbits,_Z6kernelIdLi1ELi16ELi32ELi3ELi4ELi16EEvT_S0_iiPKS0_S2_PS0_S3_,comdat
.Lfunc_end1:
	.size	_Z6kernelIdLi1ELi16ELi32ELi3ELi4ELi16EEvT_S0_iiPKS0_S2_PS0_S3_, .Lfunc_end1-_Z6kernelIdLi1ELi16ELi32ELi3ELi4ELi16EEvT_S0_iiPKS0_S2_PS0_S3_
                                        ; -- End function
	.set _Z6kernelIdLi1ELi16ELi32ELi3ELi4ELi16EEvT_S0_iiPKS0_S2_PS0_S3_.num_vgpr, 26
	.set _Z6kernelIdLi1ELi16ELi32ELi3ELi4ELi16EEvT_S0_iiPKS0_S2_PS0_S3_.num_agpr, 0
	.set _Z6kernelIdLi1ELi16ELi32ELi3ELi4ELi16EEvT_S0_iiPKS0_S2_PS0_S3_.numbered_sgpr, 21
	.set _Z6kernelIdLi1ELi16ELi32ELi3ELi4ELi16EEvT_S0_iiPKS0_S2_PS0_S3_.num_named_barrier, 0
	.set _Z6kernelIdLi1ELi16ELi32ELi3ELi4ELi16EEvT_S0_iiPKS0_S2_PS0_S3_.private_seg_size, 0
	.set _Z6kernelIdLi1ELi16ELi32ELi3ELi4ELi16EEvT_S0_iiPKS0_S2_PS0_S3_.uses_vcc, 1
	.set _Z6kernelIdLi1ELi16ELi32ELi3ELi4ELi16EEvT_S0_iiPKS0_S2_PS0_S3_.uses_flat_scratch, 0
	.set _Z6kernelIdLi1ELi16ELi32ELi3ELi4ELi16EEvT_S0_iiPKS0_S2_PS0_S3_.has_dyn_sized_stack, 0
	.set _Z6kernelIdLi1ELi16ELi32ELi3ELi4ELi16EEvT_S0_iiPKS0_S2_PS0_S3_.has_recursion, 0
	.set _Z6kernelIdLi1ELi16ELi32ELi3ELi4ELi16EEvT_S0_iiPKS0_S2_PS0_S3_.has_indirect_call, 0
	.section	.AMDGPU.csdata,"",@progbits
; Kernel info:
; codeLenInByte = 1908
; TotalNumSgprs: 25
; NumVgprs: 26
; ScratchSize: 0
; MemoryBound: 0
; FloatMode: 240
; IeeeMode: 1
; LDSByteSize: 8192 bytes/workgroup (compile time only)
; SGPRBlocks: 8
; VGPRBlocks: 7
; NumSGPRsForWavesPerEU: 65
; NumVGPRsForWavesPerEU: 29
; Occupancy: 8
; WaveLimiterHint : 0
; COMPUTE_PGM_RSRC2:SCRATCH_EN: 0
; COMPUTE_PGM_RSRC2:USER_SGPR: 6
; COMPUTE_PGM_RSRC2:TRAP_HANDLER: 0
; COMPUTE_PGM_RSRC2:TGID_X_EN: 1
; COMPUTE_PGM_RSRC2:TGID_Y_EN: 1
; COMPUTE_PGM_RSRC2:TGID_Z_EN: 0
; COMPUTE_PGM_RSRC2:TIDIG_COMP_CNT: 1
	.section	.AMDGPU.gpr_maximums,"",@progbits
	.set amdgpu.max_num_vgpr, 0
	.set amdgpu.max_num_agpr, 0
	.set amdgpu.max_num_sgpr, 0
	.section	.AMDGPU.csdata,"",@progbits
	.type	__hip_cuid_911ce22a7071390c,@object ; @__hip_cuid_911ce22a7071390c
	.section	.bss,"aw",@nobits
	.globl	__hip_cuid_911ce22a7071390c
__hip_cuid_911ce22a7071390c:
	.byte	0                               ; 0x0
	.size	__hip_cuid_911ce22a7071390c, 1

	.ident	"AMD clang version 22.0.0git (https://github.com/RadeonOpenCompute/llvm-project roc-7.2.4 26084 f58b06dce1f9c15707c5f808fd002e18c2accf7e)"
	.section	".note.GNU-stack","",@progbits
	.addrsig
	.addrsig_sym __hip_cuid_911ce22a7071390c
	.amdgpu_metadata
---
amdhsa.kernels:
  - .args:
      - .offset:         0
        .size:           4
        .value_kind:     by_value
      - .offset:         4
        .size:           4
        .value_kind:     by_value
      - .offset:         8
        .size:           4
        .value_kind:     by_value
      - .offset:         12
        .size:           4
        .value_kind:     by_value
      - .actual_access:  read_only
        .address_space:  global
        .offset:         16
        .size:           8
        .value_kind:     global_buffer
      - .actual_access:  read_only
        .address_space:  global
        .offset:         24
        .size:           8
        .value_kind:     global_buffer
      - .actual_access:  write_only
        .address_space:  global
        .offset:         32
        .size:           8
        .value_kind:     global_buffer
      - .actual_access:  write_only
        .address_space:  global
        .offset:         40
        .size:           8
        .value_kind:     global_buffer
    .group_segment_fixed_size: 12288
    .kernarg_segment_align: 8
    .kernarg_segment_size: 48
    .language:       OpenCL C
    .language_version:
      - 2
      - 0
    .max_flat_workgroup_size: 1024
    .name:           _Z6kernelIfLi1ELi16ELi96ELi3ELi4ELi16EEvT_S0_iiPKS0_S2_PS0_S3_
    .private_segment_fixed_size: 0
    .sgpr_count:     33
    .sgpr_spill_count: 0
    .symbol:         _Z6kernelIfLi1ELi16ELi96ELi3ELi4ELi16EEvT_S0_iiPKS0_S2_PS0_S3_.kd
    .uniform_work_group_size: 1
    .uses_dynamic_stack: false
    .vgpr_count:     30
    .vgpr_spill_count: 0
    .wavefront_size: 64
  - .args:
      - .offset:         0
        .size:           8
        .value_kind:     by_value
      - .offset:         8
        .size:           8
        .value_kind:     by_value
      - .offset:         16
        .size:           4
        .value_kind:     by_value
      - .offset:         20
        .size:           4
        .value_kind:     by_value
      - .actual_access:  read_only
        .address_space:  global
        .offset:         24
        .size:           8
        .value_kind:     global_buffer
      - .actual_access:  read_only
        .address_space:  global
        .offset:         32
        .size:           8
        .value_kind:     global_buffer
      - .actual_access:  write_only
        .address_space:  global
        .offset:         40
        .size:           8
        .value_kind:     global_buffer
      - .actual_access:  write_only
        .address_space:  global
        .offset:         48
        .size:           8
        .value_kind:     global_buffer
    .group_segment_fixed_size: 8192
    .kernarg_segment_align: 8
    .kernarg_segment_size: 56
    .language:       OpenCL C
    .language_version:
      - 2
      - 0
    .max_flat_workgroup_size: 1024
    .name:           _Z6kernelIdLi1ELi16ELi32ELi3ELi4ELi16EEvT_S0_iiPKS0_S2_PS0_S3_
    .private_segment_fixed_size: 0
    .sgpr_count:     25
    .sgpr_spill_count: 0
    .symbol:         _Z6kernelIdLi1ELi16ELi32ELi3ELi4ELi16EEvT_S0_iiPKS0_S2_PS0_S3_.kd
    .uniform_work_group_size: 1
    .uses_dynamic_stack: false
    .vgpr_count:     26
    .vgpr_spill_count: 0
    .wavefront_size: 64
amdhsa.target:   amdgcn-amd-amdhsa--gfx906
amdhsa.version:
  - 1
  - 2
...

	.end_amdgpu_metadata
